;; amdgpu-corpus repo=ROCm/rocFFT kind=compiled arch=gfx906 opt=O3
	.text
	.amdgcn_target "amdgcn-amd-amdhsa--gfx906"
	.amdhsa_code_object_version 6
	.protected	bluestein_single_fwd_len616_dim1_sp_op_CI_CI ; -- Begin function bluestein_single_fwd_len616_dim1_sp_op_CI_CI
	.globl	bluestein_single_fwd_len616_dim1_sp_op_CI_CI
	.p2align	8
	.type	bluestein_single_fwd_len616_dim1_sp_op_CI_CI,@function
bluestein_single_fwd_len616_dim1_sp_op_CI_CI: ; @bluestein_single_fwd_len616_dim1_sp_op_CI_CI
; %bb.0:
	s_load_dwordx4 s[0:3], s[4:5], 0x28
	v_mul_u32_u24_e32 v1, 0x2e9, v0
	v_add_u32_sdwa v46, s6, v1 dst_sel:DWORD dst_unused:UNUSED_PAD src0_sel:DWORD src1_sel:WORD_1
	v_mov_b32_e32 v47, 0
	s_waitcnt lgkmcnt(0)
	v_cmp_gt_u64_e32 vcc, s[0:1], v[46:47]
	s_and_saveexec_b64 s[0:1], vcc
	s_cbranch_execz .LBB0_23
; %bb.1:
	s_load_dwordx2 s[12:13], s[4:5], 0x0
	s_load_dwordx2 s[14:15], s[4:5], 0x38
	s_movk_i32 s0, 0x58
	v_mul_lo_u16_sdwa v1, v1, s0 dst_sel:DWORD dst_unused:UNUSED_PAD src0_sel:WORD_1 src1_sel:DWORD
	v_sub_u16_e32 v52, v0, v1
	v_cmp_gt_u16_e64 s[0:1], 56, v52
	v_lshlrev_b32_e32 v51, 3, v52
	s_and_saveexec_b64 s[6:7], s[0:1]
	s_cbranch_execz .LBB0_3
; %bb.2:
	s_load_dwordx2 s[8:9], s[4:5], 0x18
	s_waitcnt lgkmcnt(0)
	v_mov_b32_e32 v28, s13
	v_or_b32_e32 v30, 0x1c0, v52
	s_load_dwordx4 s[8:11], s[8:9], 0x0
	s_waitcnt lgkmcnt(0)
	v_mad_u64_u32 v[0:1], s[16:17], s10, v46, 0
	v_mad_u64_u32 v[2:3], s[16:17], s8, v52, 0
	;; [unrolled: 1-line block ×4, first 2 shown]
	v_mov_b32_e32 v1, v4
	v_lshlrev_b64 v[0:1], 3, v[0:1]
	v_mov_b32_e32 v3, v5
	v_mov_b32_e32 v6, s3
	v_lshlrev_b64 v[2:3], 3, v[2:3]
	v_add_co_u32_e32 v36, vcc, s2, v0
	v_addc_co_u32_e32 v37, vcc, v6, v1, vcc
	v_add_co_u32_e32 v0, vcc, v36, v2
	s_mul_i32 s2, s9, 0x1c0
	s_mul_hi_u32 s3, s8, 0x1c0
	v_addc_co_u32_e32 v1, vcc, v37, v3, vcc
	s_add_i32 s2, s3, s2
	s_mul_i32 s3, s8, 0x1c0
	v_mov_b32_e32 v3, s2
	v_add_co_u32_e32 v2, vcc, s3, v0
	v_addc_co_u32_e32 v3, vcc, v1, v3, vcc
	v_mov_b32_e32 v5, s2
	v_add_co_u32_e32 v4, vcc, s3, v2
	v_addc_co_u32_e32 v5, vcc, v3, v5, vcc
	;; [unrolled: 3-line block ×3, first 2 shown]
	global_load_dwordx2 v[8:9], v51, s[12:13]
	global_load_dwordx2 v[10:11], v51, s[12:13] offset:448
	global_load_dwordx2 v[12:13], v51, s[12:13] offset:896
	;; [unrolled: 1-line block ×3, first 2 shown]
	global_load_dwordx2 v[16:17], v[0:1], off
	global_load_dwordx2 v[18:19], v[2:3], off
	global_load_dwordx2 v[20:21], v[4:5], off
	global_load_dwordx2 v[22:23], v[6:7], off
	v_mov_b32_e32 v1, s2
	v_add_co_u32_e32 v0, vcc, s3, v6
	v_addc_co_u32_e32 v1, vcc, v7, v1, vcc
	v_add_co_u32_e32 v44, vcc, s12, v51
	v_addc_co_u32_e32 v45, vcc, 0, v28, vcc
	v_mad_u64_u32 v[28:29], s[10:11], s8, v30, 0
	global_load_dwordx2 v[2:3], v[0:1], off
	v_mov_b32_e32 v31, s2
	v_add_co_u32_e32 v0, vcc, s3, v0
	v_mad_u64_u32 v[29:30], s[10:11], s9, v30, v[29:30]
	v_addc_co_u32_e32 v1, vcc, v1, v31, vcc
	v_mov_b32_e32 v32, s2
	v_add_co_u32_e32 v30, vcc, s3, v0
	v_addc_co_u32_e32 v31, vcc, v1, v32, vcc
	global_load_dwordx2 v[4:5], v51, s[12:13] offset:1792
	global_load_dwordx2 v[6:7], v51, s[12:13] offset:2240
	;; [unrolled: 1-line block ×4, first 2 shown]
	v_mov_b32_e32 v38, s2
	global_load_dwordx2 v[32:33], v[0:1], off
	global_load_dwordx2 v[34:35], v[30:31], off
	v_add_co_u32_e32 v0, vcc, s3, v30
	v_lshlrev_b64 v[28:29], 3, v[28:29]
	v_addc_co_u32_e32 v1, vcc, v31, v38, vcc
	v_add_co_u32_e32 v28, vcc, v36, v28
	v_mov_b32_e32 v36, 0x380
	global_load_dwordx2 v[30:31], v[0:1], off
	v_mad_u64_u32 v[0:1], s[10:11], s8, v36, v[0:1]
	s_mul_i32 s8, s9, 0x380
	v_addc_co_u32_e32 v29, vcc, v37, v29, vcc
	v_add_u32_e32 v1, s8, v1
	global_load_dwordx2 v[36:37], v[28:29], off
	global_load_dwordx2 v[38:39], v51, s[12:13] offset:3584
	v_mov_b32_e32 v40, s2
	global_load_dwordx2 v[28:29], v[0:1], off
	v_add_co_u32_e32 v0, vcc, s3, v0
	v_addc_co_u32_e32 v1, vcc, v1, v40, vcc
	global_load_dwordx2 v[40:41], v51, s[12:13] offset:4032
	global_load_dwordx2 v[42:43], v[0:1], off
	v_add_co_u32_e32 v0, vcc, 0x1000, v44
	v_addc_co_u32_e32 v1, vcc, 0, v45, vcc
	global_load_dwordx2 v[0:1], v[0:1], off offset:384
	s_waitcnt vmcnt(17)
	v_mul_f32_e32 v44, v17, v9
	v_mul_f32_e32 v9, v16, v9
	v_fmac_f32_e32 v44, v16, v8
	v_fma_f32 v45, v17, v8, -v9
	s_waitcnt vmcnt(16)
	v_mul_f32_e32 v8, v19, v11
	v_mul_f32_e32 v9, v18, v11
	v_fmac_f32_e32 v8, v18, v10
	v_fma_f32 v9, v19, v10, -v9
	s_waitcnt vmcnt(14)
	v_mul_f32_e32 v10, v22, v15
	ds_write2_b64 v51, v[44:45], v[8:9] offset1:56
	v_mul_f32_e32 v8, v21, v13
	v_mul_f32_e32 v9, v20, v13
	v_fma_f32 v11, v23, v14, -v10
	v_mul_f32_e32 v10, v23, v15
	v_fmac_f32_e32 v8, v20, v12
	v_fma_f32 v9, v21, v12, -v9
	v_fmac_f32_e32 v10, v22, v14
	ds_write2_b64 v51, v[8:9], v[10:11] offset0:112 offset1:168
	s_waitcnt vmcnt(12)
	v_mul_f32_e32 v8, v3, v5
	v_mul_f32_e32 v5, v2, v5
	v_fmac_f32_e32 v8, v2, v4
	v_fma_f32 v9, v3, v4, -v5
	s_waitcnt vmcnt(8)
	v_mul_f32_e32 v2, v32, v7
	v_fma_f32 v3, v33, v6, -v2
	v_mul_f32_e32 v2, v33, v7
	v_fmac_f32_e32 v2, v32, v6
	v_add_u32_e32 v4, 0x400, v51
	ds_write2_b64 v4, v[8:9], v[2:3] offset0:96 offset1:152
	s_waitcnt vmcnt(7)
	v_mul_f32_e32 v2, v35, v25
	v_mul_f32_e32 v3, v34, v25
	v_fmac_f32_e32 v2, v34, v24
	v_fma_f32 v3, v35, v24, -v3
	s_waitcnt vmcnt(6)
	v_mul_f32_e32 v4, v31, v27
	v_mul_f32_e32 v5, v30, v27
	v_fmac_f32_e32 v4, v30, v26
	v_fma_f32 v5, v31, v26, -v5
	v_add_u32_e32 v6, 0x800, v51
	ds_write2_b64 v6, v[2:3], v[4:5] offset0:80 offset1:136
	s_waitcnt vmcnt(4)
	v_mul_f32_e32 v2, v37, v39
	v_mul_f32_e32 v3, v36, v39
	v_fmac_f32_e32 v2, v36, v38
	v_fma_f32 v3, v37, v38, -v3
	s_waitcnt vmcnt(2)
	v_mul_f32_e32 v4, v29, v41
	v_mul_f32_e32 v5, v28, v41
	v_fmac_f32_e32 v4, v28, v40
	v_fma_f32 v5, v29, v40, -v5
	ds_write2_b64 v6, v[2:3], v[4:5] offset0:192 offset1:248
	s_waitcnt vmcnt(0)
	v_mul_f32_e32 v2, v43, v1
	v_mul_f32_e32 v1, v42, v1
	v_fmac_f32_e32 v2, v42, v0
	v_fma_f32 v3, v43, v0, -v1
	ds_write_b64 v51, v[2:3] offset:4480
.LBB0_3:
	s_or_b64 exec, exec, s[6:7]
	s_load_dwordx2 s[2:3], s[4:5], 0x20
	s_load_dwordx2 s[8:9], s[4:5], 0x8
	v_mov_b32_e32 v4, 0
	v_mov_b32_e32 v5, 0
	s_waitcnt lgkmcnt(0)
	s_barrier
	s_waitcnt lgkmcnt(0)
                                        ; implicit-def: $vgpr10
                                        ; implicit-def: $vgpr20
                                        ; implicit-def: $vgpr24
                                        ; implicit-def: $vgpr18
                                        ; implicit-def: $vgpr14
	s_and_saveexec_b64 s[4:5], s[0:1]
	s_cbranch_execz .LBB0_5
; %bb.4:
	v_add_u32_e32 v0, 0x400, v51
	ds_read2_b64 v[4:7], v51 offset1:56
	ds_read2_b64 v[12:15], v51 offset0:112 offset1:168
	ds_read2_b64 v[16:19], v0 offset0:96 offset1:152
	v_add_u32_e32 v0, 0x800, v51
	ds_read2_b64 v[8:11], v0 offset0:80 offset1:136
	ds_read2_b64 v[20:23], v0 offset0:192 offset1:248
	ds_read_b64 v[24:25], v51 offset:4480
.LBB0_5:
	s_or_b64 exec, exec, s[4:5]
	s_waitcnt lgkmcnt(0)
	v_sub_f32_e32 v38, v7, v25
	v_mul_f32_e32 v26, 0xbf0a6770, v38
	v_sub_f32_e32 v45, v13, v23
	v_add_f32_e32 v33, v24, v6
	v_mov_b32_e32 v0, v26
	v_mul_f32_e32 v27, 0xbf68dda4, v45
	v_fmac_f32_e32 v0, 0x3f575c64, v33
	v_add_f32_e32 v36, v22, v12
	v_mov_b32_e32 v1, v27
	v_sub_f32_e32 v42, v6, v24
	v_add_f32_e32 v40, v25, v7
	v_add_f32_e32 v0, v0, v4
	v_fmac_f32_e32 v1, 0x3ed4b147, v36
	s_mov_b32 s7, 0x3f575c64
	v_mul_f32_e32 v28, 0xbf0a6770, v42
	v_sub_f32_e32 v43, v12, v22
	v_add_f32_e32 v0, v1, v0
	v_fma_f32 v1, v40, s7, -v28
	s_mov_b32 s6, 0x3ed4b147
	v_add_f32_e32 v57, v23, v13
	v_mul_f32_e32 v29, 0xbf68dda4, v43
	v_sub_f32_e32 v62, v15, v21
	v_add_f32_e32 v1, v1, v5
	v_fma_f32 v2, v57, s6, -v29
	v_mul_f32_e32 v32, 0xbf7d64f0, v62
	v_add_f32_e32 v1, v2, v1
	v_add_f32_e32 v41, v20, v14
	v_mov_b32_e32 v2, v32
	v_sub_f32_e32 v55, v14, v20
	v_fmac_f32_e32 v2, 0xbe11bafb, v41
	s_mov_b32 s10, 0xbe11bafb
	v_add_f32_e32 v69, v21, v15
	v_mul_f32_e32 v34, 0xbf7d64f0, v55
	v_sub_f32_e32 v70, v17, v11
	v_add_f32_e32 v0, v2, v0
	v_fma_f32 v2, v69, s10, -v34
	v_mul_f32_e32 v35, 0xbf4178ce, v70
	v_add_f32_e32 v1, v2, v1
	v_add_f32_e32 v54, v10, v16
	v_mov_b32_e32 v2, v35
	v_sub_f32_e32 v65, v16, v10
	v_fmac_f32_e32 v2, 0xbf27a4f4, v54
	s_mov_b32 s11, 0xbf27a4f4
	v_add_f32_e32 v67, v11, v17
	v_mul_f32_e32 v37, 0xbf4178ce, v65
	v_sub_f32_e32 v78, v19, v9
	v_add_f32_e32 v0, v2, v0
	v_fma_f32 v2, v67, s11, -v37
	v_mul_f32_e32 v39, 0xbe903f40, v78
	v_add_f32_e32 v1, v2, v1
	v_add_f32_e32 v68, v8, v18
	v_mov_b32_e32 v2, v39
	v_sub_f32_e32 v76, v18, v8
	s_mov_b32 s16, 0xbf75a155
	v_fmac_f32_e32 v2, 0xbf75a155, v68
	v_add_f32_e32 v71, v9, v19
	v_mul_f32_e32 v44, 0xbe903f40, v76
	v_add_f32_e32 v47, v2, v0
	v_fma_f32 v0, v71, s16, -v44
	v_mul_f32_e32 v49, 0xbf68dda4, v38
	v_add_f32_e32 v48, v0, v1
	v_mov_b32_e32 v0, v49
	v_mul_f32_e32 v50, 0xbf4178ce, v45
	v_fmac_f32_e32 v0, 0x3ed4b147, v33
	v_mov_b32_e32 v1, v50
	v_add_f32_e32 v0, v0, v4
	v_fmac_f32_e32 v1, 0xbf27a4f4, v36
	v_mul_f32_e32 v59, 0xbf68dda4, v42
	v_add_f32_e32 v0, v1, v0
	v_fma_f32 v1, v40, s6, -v59
	v_mul_f32_e32 v60, 0xbf4178ce, v43
	v_add_f32_e32 v1, v1, v5
	v_fma_f32 v2, v57, s11, -v60
	v_mul_f32_e32 v56, 0x3e903f40, v62
	v_add_f32_e32 v1, v2, v1
	v_mov_b32_e32 v2, v56
	v_fmac_f32_e32 v2, 0xbf75a155, v41
	v_mul_f32_e32 v63, 0x3e903f40, v55
	v_add_f32_e32 v0, v2, v0
	v_fma_f32 v2, v69, s16, -v63
	v_mul_f32_e32 v58, 0x3f7d64f0, v70
	v_add_f32_e32 v1, v2, v1
	v_mov_b32_e32 v2, v58
	v_fmac_f32_e32 v2, 0xbe11bafb, v54
	;; [unrolled: 7-line block ×3, first 2 shown]
	v_mul_f32_e32 v66, 0x3f0a6770, v76
	v_mul_f32_e32 v72, 0xbf7d64f0, v38
	v_fma_f32 v3, v71, s7, -v66
	v_add_f32_e32 v2, v2, v0
	v_mov_b32_e32 v0, v72
	v_mul_f32_e32 v73, 0x3e903f40, v45
	v_add_f32_e32 v3, v3, v1
	v_fmac_f32_e32 v0, 0xbe11bafb, v33
	v_mov_b32_e32 v1, v73
	v_add_f32_e32 v0, v0, v4
	v_fmac_f32_e32 v1, 0xbf75a155, v36
	v_mul_f32_e32 v74, 0x3f68dda4, v62
	v_add_f32_e32 v0, v1, v0
	v_mov_b32_e32 v1, v74
	v_fmac_f32_e32 v1, 0x3ed4b147, v41
	v_mul_f32_e32 v75, 0xbf0a6770, v70
	v_add_f32_e32 v0, v1, v0
	v_mov_b32_e32 v1, v75
	;; [unrolled: 4-line block ×3, first 2 shown]
	v_fmac_f32_e32 v1, 0xbf27a4f4, v68
	v_mul_f32_e32 v79, 0xbf7d64f0, v42
	v_add_f32_e32 v0, v1, v0
	v_fma_f32 v1, v40, s10, -v79
	v_mul_f32_e32 v80, 0x3e903f40, v43
	v_add_f32_e32 v1, v1, v5
	v_fma_f32 v30, v57, s16, -v80
	;; [unrolled: 3-line block ×5, first 2 shown]
	v_mul_f32_e32 v84, 0xbf4178ce, v38
	v_add_f32_e32 v1, v30, v1
	v_mov_b32_e32 v30, v84
	v_mul_f32_e32 v85, 0x3f7d64f0, v45
	v_fmac_f32_e32 v30, 0xbf27a4f4, v33
	v_mov_b32_e32 v31, v85
	v_add_f32_e32 v30, v30, v4
	v_fmac_f32_e32 v31, 0xbe11bafb, v36
	v_mul_f32_e32 v88, 0xbf4178ce, v42
	v_add_f32_e32 v30, v31, v30
	v_fma_f32 v31, v40, s11, -v88
	v_mul_f32_e32 v89, 0x3f7d64f0, v43
	v_add_f32_e32 v31, v31, v5
	v_fma_f32 v53, v57, s10, -v89
	v_mul_f32_e32 v86, 0xbf0a6770, v62
	v_add_f32_e32 v31, v53, v31
	v_mov_b32_e32 v53, v86
	v_fmac_f32_e32 v53, 0x3f575c64, v41
	v_mul_f32_e32 v91, 0xbf0a6770, v55
	v_add_f32_e32 v30, v53, v30
	v_fma_f32 v53, v69, s7, -v91
	v_mul_f32_e32 v87, 0xbe903f40, v70
	v_add_f32_e32 v31, v53, v31
	v_mov_b32_e32 v53, v87
	v_fmac_f32_e32 v53, 0xbf75a155, v54
	v_mul_f32_e32 v92, 0xbe903f40, v65
	v_add_f32_e32 v30, v53, v30
	v_fma_f32 v53, v67, s16, -v92
	v_mul_f32_e32 v90, 0x3f68dda4, v78
	v_add_f32_e32 v31, v53, v31
	v_mov_b32_e32 v53, v90
	v_mul_f32_e32 v93, 0x3f68dda4, v76
	v_fmac_f32_e32 v53, 0x3ed4b147, v68
	v_fma_f32 v94, v71, s6, -v93
	v_add_f32_e32 v30, v53, v30
	v_add_f32_e32 v31, v94, v31
	v_mul_lo_u16_e32 v53, 11, v52
	s_barrier
	s_and_saveexec_b64 s[4:5], s[0:1]
	s_cbranch_execz .LBB0_7
; %bb.6:
	v_mul_f32_e32 v97, 0x3f575c64, v40
	v_mul_f32_e32 v99, 0x3ed4b147, v40
	;; [unrolled: 1-line block ×9, first 2 shown]
	v_mov_b32_e32 v94, v40
	v_mul_f32_e32 v57, 0x3f575c64, v57
	v_fmac_f32_e32 v94, 0x3e903f40, v42
	v_mov_b32_e32 v95, v57
	v_mul_f32_e32 v113, 0xbe11bafb, v69
	v_mul_f32_e32 v115, 0xbf75a155, v69
	;; [unrolled: 1-line block ×4, first 2 shown]
	v_add_f32_e32 v94, v94, v5
	v_fmac_f32_e32 v95, 0xbf0a6770, v43
	v_mul_f32_e32 v69, 0xbf27a4f4, v69
	v_add_f32_e32 v94, v95, v94
	v_mov_b32_e32 v95, v69
	v_fmac_f32_e32 v95, 0x3f4178ce, v55
	v_mul_f32_e32 v121, 0x3ed4b147, v67
	v_add_f32_e32 v94, v95, v94
	v_mov_b32_e32 v95, v121
	;; [unrolled: 4-line block ×3, first 2 shown]
	v_fmac_f32_e32 v40, 0xbe903f40, v42
	v_fmac_f32_e32 v95, 0x3f7d64f0, v76
	v_mul_f32_e32 v38, 0xbe903f40, v38
	v_fmac_f32_e32 v57, 0x3f0a6770, v43
	v_add_f32_e32 v40, v40, v5
	v_add_f32_e32 v95, v95, v94
	v_mov_b32_e32 v94, v38
	v_mul_f32_e32 v45, 0x3f0a6770, v45
	v_add_f32_e32 v40, v57, v40
	v_fmac_f32_e32 v69, 0xbf4178ce, v55
	v_mul_f32_e32 v96, 0x3f575c64, v33
	v_mul_f32_e32 v98, 0x3ed4b147, v33
	;; [unrolled: 1-line block ×4, first 2 shown]
	v_fmac_f32_e32 v94, 0xbf75a155, v33
	v_mov_b32_e32 v123, v45
	v_add_f32_e32 v40, v69, v40
	v_fmac_f32_e32 v121, 0x3f68dda4, v65
	v_fma_f32 v33, v33, s16, -v38
	v_mul_f32_e32 v104, 0x3ed4b147, v36
	v_mul_f32_e32 v106, 0xbf27a4f4, v36
	;; [unrolled: 1-line block ×4, first 2 shown]
	v_add_f32_e32 v94, v94, v4
	v_fmac_f32_e32 v123, 0x3f575c64, v36
	v_mul_f32_e32 v62, 0xbf4178ce, v62
	v_add_f32_e32 v40, v121, v40
	v_fmac_f32_e32 v122, 0xbf7d64f0, v76
	v_fma_f32 v36, v36, s7, -v45
	v_add_f32_e32 v33, v33, v4
	v_add_f32_e32 v94, v123, v94
	v_mov_b32_e32 v123, v62
	v_mul_f32_e32 v70, 0x3f68dda4, v70
	v_add_f32_e32 v33, v36, v33
	v_add_f32_e32 v42, v122, v40
	v_fma_f32 v40, v41, s11, -v62
	v_fmac_f32_e32 v123, 0xbf27a4f4, v41
	v_mul_f32_e32 v78, 0xbf7d64f0, v78
	v_add_f32_e32 v33, v40, v33
	v_fma_f32 v40, v54, s6, -v70
	v_add_f32_e32 v94, v123, v94
	v_mov_b32_e32 v123, v70
	v_add_f32_e32 v33, v40, v33
	v_fma_f32 v40, v68, s10, -v78
	v_mul_f32_e32 v112, 0xbe11bafb, v41
	v_mul_f32_e32 v114, 0xbf75a155, v41
	;; [unrolled: 1-line block ×4, first 2 shown]
	v_fmac_f32_e32 v123, 0x3ed4b147, v54
	v_add_f32_e32 v41, v40, v33
	v_add_f32_e32 v33, v88, v103
	;; [unrolled: 1-line block ×3, first 2 shown]
	v_mov_b32_e32 v123, v78
	v_add_f32_e32 v33, v33, v5
	v_add_f32_e32 v40, v89, v111
	v_fmac_f32_e32 v123, 0xbe11bafb, v68
	v_mul_f32_e32 v55, 0xbf75a155, v67
	v_add_f32_e32 v33, v40, v33
	v_add_f32_e32 v40, v91, v119
	;; [unrolled: 1-line block ×3, first 2 shown]
	v_mul_f32_e32 v123, 0xbf27a4f4, v67
	v_mul_f32_e32 v125, 0xbe11bafb, v67
	;; [unrolled: 1-line block ×4, first 2 shown]
	v_add_f32_e32 v33, v40, v33
	v_add_f32_e32 v40, v92, v55
	v_add_f32_e32 v33, v40, v33
	v_add_f32_e32 v40, v93, v67
	v_add_f32_e32 v55, v40, v33
	v_sub_f32_e32 v33, v102, v84
	v_add_f32_e32 v33, v33, v4
	v_sub_f32_e32 v40, v110, v85
	v_mul_f32_e32 v126, 0xbf75a155, v54
	v_add_f32_e32 v33, v40, v33
	v_sub_f32_e32 v40, v118, v86
	v_mul_f32_e32 v36, 0x3ed4b147, v68
	v_add_f32_e32 v33, v40, v33
	v_sub_f32_e32 v40, v126, v87
	v_add_f32_e32 v33, v40, v33
	v_sub_f32_e32 v36, v36, v90
	v_mul_f32_e32 v120, 0xbf27a4f4, v54
	v_mul_f32_e32 v124, 0xbe11bafb, v54
	;; [unrolled: 1-line block ×3, first 2 shown]
	v_add_f32_e32 v54, v36, v33
	v_add_f32_e32 v33, v79, v101
	v_add_f32_e32 v33, v33, v5
	v_add_f32_e32 v36, v80, v109
	v_add_f32_e32 v33, v36, v33
	v_add_f32_e32 v36, v81, v117
	v_mul_f32_e32 v45, 0xbf27a4f4, v71
	v_add_f32_e32 v33, v36, v33
	v_add_f32_e32 v36, v82, v57
	;; [unrolled: 1-line block ×4, first 2 shown]
	v_mul_f32_e32 v69, 0xbf75a155, v68
	v_mul_f32_e32 v121, 0x3f575c64, v68
	;; [unrolled: 1-line block ×3, first 2 shown]
	v_add_f32_e32 v68, v36, v33
	v_sub_f32_e32 v33, v100, v72
	v_add_f32_e32 v33, v33, v4
	v_sub_f32_e32 v36, v108, v73
	;; [unrolled: 2-line block ×5, first 2 shown]
	v_add_f32_e32 v67, v36, v33
	v_add_f32_e32 v33, v59, v99
	;; [unrolled: 1-line block ×6, first 2 shown]
	v_mul_f32_e32 v76, 0x3f575c64, v71
	v_add_f32_e32 v33, v36, v33
	v_add_f32_e32 v36, v64, v125
	;; [unrolled: 1-line block ×5, first 2 shown]
	v_sub_f32_e32 v33, v98, v49
	v_add_f32_e32 v28, v28, v97
	v_sub_f32_e32 v26, v96, v26
	v_add_f32_e32 v33, v33, v4
	v_add_f32_e32 v28, v28, v5
	;; [unrolled: 1-line block ×14, first 2 shown]
	v_sub_f32_e32 v27, v104, v27
	v_add_f32_e32 v5, v9, v5
	v_add_f32_e32 v4, v8, v4
	v_sub_f32_e32 v36, v106, v50
	v_add_f32_e32 v28, v29, v28
	v_add_f32_e32 v29, v34, v113
	;; [unrolled: 1-line block ×3, first 2 shown]
	v_sub_f32_e32 v27, v112, v32
	v_add_f32_e32 v5, v11, v5
	v_add_f32_e32 v4, v10, v4
	v_mul_f32_e32 v65, 0xbf75a155, v71
	v_add_f32_e32 v33, v36, v33
	v_sub_f32_e32 v36, v114, v56
	v_add_f32_e32 v28, v29, v28
	v_add_f32_e32 v29, v37, v123
	v_add_f32_e32 v26, v27, v26
	v_sub_f32_e32 v27, v120, v35
	v_add_f32_e32 v5, v21, v5
	v_add_f32_e32 v4, v20, v4
	v_add_f32_e32 v33, v36, v33
	v_sub_f32_e32 v36, v124, v58
	v_add_f32_e32 v28, v29, v28
	v_add_f32_e32 v29, v44, v65
	v_add_f32_e32 v26, v27, v26
	v_sub_f32_e32 v27, v69, v39
	v_add_f32_e32 v5, v23, v5
	v_add_f32_e32 v4, v22, v4
	v_add_f32_e32 v33, v36, v33
	v_sub_f32_e32 v36, v121, v61
	v_add_f32_e32 v28, v29, v28
	v_add_f32_e32 v27, v27, v26
	v_add_f32_e32 v5, v25, v5
	v_add_f32_e32 v4, v24, v4
	v_lshlrev_b32_e32 v6, 3, v53
	v_add_f32_e32 v56, v36, v33
	ds_write2_b64 v6, v[4:5], v[27:28] offset1:1
	ds_write2_b64 v6, v[56:57], v[67:68] offset0:2 offset1:3
	ds_write2_b64 v6, v[54:55], v[41:42] offset0:4 offset1:5
	;; [unrolled: 1-line block ×4, first 2 shown]
	ds_write_b64 v6, v[47:48] offset:80
.LBB0_7:
	s_or_b64 exec, exec, s[4:5]
	s_load_dwordx4 s[4:7], s[2:3], 0x0
	s_movk_i32 s2, 0x75
	v_mul_lo_u16_sdwa v4, v52, s2 dst_sel:DWORD dst_unused:UNUSED_PAD src0_sel:BYTE_0 src1_sel:DWORD
	v_sub_u16_sdwa v5, v52, v4 dst_sel:DWORD dst_unused:UNUSED_PAD src0_sel:DWORD src1_sel:BYTE_1
	v_lshrrev_b16_e32 v5, 1, v5
	v_and_b32_e32 v5, 0x7f, v5
	v_add_u16_sdwa v4, v5, v4 dst_sel:DWORD dst_unused:UNUSED_PAD src0_sel:DWORD src1_sel:BYTE_1
	v_lshrrev_b16_e32 v44, 3, v4
	v_mul_lo_u16_e32 v4, 11, v44
	v_sub_u16_e32 v4, v52, v4
	v_and_b32_e32 v45, 0xff, v4
	v_mul_u32_u24_e32 v4, 6, v45
	v_lshlrev_b32_e32 v16, 3, v4
	s_waitcnt lgkmcnt(0)
	s_barrier
	global_load_dwordx4 v[12:15], v16, s[8:9]
	global_load_dwordx4 v[8:11], v16, s[8:9] offset:16
	global_load_dwordx4 v[4:7], v16, s[8:9] offset:32
	v_add_u32_e32 v21, 0x400, v51
	v_add_u32_e32 v16, 0x800, v51
	ds_read2_b64 v[17:20], v51 offset1:88
	ds_read_b64 v[32:33], v51 offset:4224
	ds_read2_b64 v[21:24], v21 offset0:48 offset1:136
	ds_read2_b64 v[25:28], v16 offset0:96 offset1:184
	s_mov_b32 s3, 0x3f3bfb3b
	s_mov_b32 s2, 0x3f5ff5aa
	;; [unrolled: 1-line block ×3, first 2 shown]
	s_waitcnt vmcnt(0) lgkmcnt(0)
	s_barrier
	v_mul_f32_e32 v29, v20, v13
	v_mul_f32_e32 v34, v19, v13
	;; [unrolled: 1-line block ×11, first 2 shown]
	v_fma_f32 v19, v19, v12, -v29
	v_fmac_f32_e32 v34, v20, v12
	v_fma_f32 v20, v21, v14, -v35
	v_fma_f32 v21, v23, v8, -v37
	v_fmac_f32_e32 v38, v24, v8
	v_fma_f32 v23, v27, v4, -v41
	v_fma_f32 v24, v32, v6, -v43
	v_mul_f32_e32 v40, v25, v11
	v_fmac_f32_e32 v36, v22, v14
	v_fma_f32 v22, v25, v10, -v39
	v_fmac_f32_e32 v42, v28, v4
	v_fmac_f32_e32 v49, v33, v6
	v_add_f32_e32 v25, v19, v24
	v_add_f32_e32 v27, v20, v23
	v_fmac_f32_e32 v40, v26, v10
	v_add_f32_e32 v26, v34, v49
	v_add_f32_e32 v28, v36, v42
	v_sub_f32_e32 v20, v20, v23
	v_add_f32_e32 v29, v21, v22
	v_sub_f32_e32 v21, v22, v21
	;; [unrolled: 2-line block ×3, first 2 shown]
	v_sub_f32_e32 v24, v34, v49
	v_sub_f32_e32 v23, v36, v42
	v_add_f32_e32 v32, v38, v40
	v_sub_f32_e32 v22, v40, v38
	v_add_f32_e32 v34, v28, v26
	v_sub_f32_e32 v35, v27, v25
	v_sub_f32_e32 v25, v25, v29
	;; [unrolled: 1-line block ×3, first 2 shown]
	v_add_f32_e32 v37, v21, v20
	v_add_f32_e32 v29, v29, v33
	v_sub_f32_e32 v36, v28, v26
	v_sub_f32_e32 v26, v26, v32
	;; [unrolled: 1-line block ×3, first 2 shown]
	v_add_f32_e32 v38, v22, v23
	v_sub_f32_e32 v39, v21, v20
	v_sub_f32_e32 v40, v22, v23
	;; [unrolled: 1-line block ×4, first 2 shown]
	v_add_f32_e32 v34, v32, v34
	v_add_f32_e32 v19, v37, v19
	v_mul_f32_e32 v37, 0x3d64c772, v27
	v_add_f32_e32 v32, v17, v29
	v_sub_f32_e32 v22, v24, v22
	v_sub_f32_e32 v23, v23, v24
	v_add_f32_e32 v24, v38, v24
	v_mul_f32_e32 v38, 0x3d64c772, v28
	v_mul_f32_e32 v49, 0xbf08b237, v39
	;; [unrolled: 1-line block ×3, first 2 shown]
	v_add_f32_e32 v33, v18, v34
	v_fma_f32 v17, v35, s3, -v37
	v_mov_b32_e32 v37, v32
	v_mul_f32_e32 v25, 0x3f4a47b2, v25
	v_mul_f32_e32 v26, 0x3f4a47b2, v26
	;; [unrolled: 1-line block ×4, first 2 shown]
	v_fma_f32 v18, v36, s3, -v38
	v_mov_b32_e32 v38, v33
	v_fmac_f32_e32 v37, 0xbf955555, v29
	v_fma_f32 v20, v20, s2, -v49
	v_fma_f32 v23, v23, s2, -v50
	s_mov_b32 s2, 0xbeae86e6
	v_fmac_f32_e32 v38, 0xbf955555, v34
	v_fma_f32 v29, v35, s10, -v25
	v_fmac_f32_e32 v25, 0x3d64c772, v27
	v_fma_f32 v27, v36, s10, -v26
	v_fmac_f32_e32 v26, 0x3d64c772, v28
	v_fmac_f32_e32 v49, 0x3eae86e6, v21
	;; [unrolled: 1-line block ×3, first 2 shown]
	v_fma_f32 v21, v21, s2, -v39
	v_fma_f32 v22, v22, s2, -v40
	v_add_f32_e32 v17, v17, v37
	v_fmac_f32_e32 v23, 0x3ee1c552, v24
	v_add_f32_e32 v25, v25, v37
	v_add_f32_e32 v26, v26, v38
	;; [unrolled: 1-line block ×5, first 2 shown]
	v_fmac_f32_e32 v49, 0x3ee1c552, v19
	v_fmac_f32_e32 v50, 0x3ee1c552, v24
	;; [unrolled: 1-line block ×5, first 2 shown]
	v_sub_f32_e32 v38, v17, v23
	v_add_f32_e32 v40, v23, v17
	s_movk_i32 s2, 0x4d
	v_mul_u32_u24_e32 v17, 0x4d, v44
	v_add_f32_e32 v34, v50, v25
	v_sub_f32_e32 v35, v26, v49
	v_add_f32_e32 v36, v22, v28
	v_sub_f32_e32 v37, v27, v21
	;; [unrolled: 2-line block ×3, first 2 shown]
	v_sub_f32_e32 v42, v28, v22
	v_add_f32_e32 v43, v21, v27
	v_sub_f32_e32 v28, v25, v50
	v_add_f32_e32 v29, v49, v26
	v_add_lshl_u32 v54, v17, v45, 3
	v_cmp_gt_u16_e64 s[2:3], s2, v52
	ds_write2_b64 v54, v[32:33], v[34:35] offset1:11
	ds_write2_b64 v54, v[36:37], v[38:39] offset0:22 offset1:33
	ds_write2_b64 v54, v[40:41], v[42:43] offset0:44 offset1:55
	ds_write_b64 v54, v[28:29] offset:528
	s_waitcnt lgkmcnt(0)
	s_barrier
	s_and_saveexec_b64 s[10:11], s[2:3]
	s_cbranch_execz .LBB0_9
; %bb.8:
	ds_read2_b64 v[32:35], v51 offset1:77
	ds_read2_b64 v[36:39], v51 offset0:154 offset1:231
	ds_read2_b64 v[40:43], v16 offset0:52 offset1:129
	v_add_u32_e32 v16, 0xc00, v51
	ds_read2_b64 v[28:31], v16 offset0:78 offset1:155
.LBB0_9:
	s_or_b64 exec, exec, s[10:11]
	v_add_u32_e32 v16, 0xffffffb3, v52
	v_cndmask_b32_e64 v16, v16, v52, s[2:3]
	v_mul_hi_i32_i24_e32 v17, 56, v16
	v_mul_i32_i24_e32 v16, 56, v16
	v_mov_b32_e32 v18, s9
	v_add_co_u32_e32 v44, vcc, s8, v16
	v_addc_co_u32_e32 v45, vcc, v18, v17, vcc
	global_load_dwordx4 v[24:27], v[44:45], off offset:528
	global_load_dwordx4 v[16:19], v[44:45], off offset:544
	;; [unrolled: 1-line block ×3, first 2 shown]
	global_load_dwordx2 v[49:50], v[44:45], off offset:576
	s_waitcnt vmcnt(3) lgkmcnt(3)
	v_mul_f32_e32 v45, v34, v25
	s_waitcnt lgkmcnt(2)
	v_mul_f32_e32 v55, v37, v27
	v_mul_f32_e32 v56, v36, v27
	s_waitcnt vmcnt(2) lgkmcnt(1)
	v_mul_f32_e32 v59, v41, v19
	v_mul_f32_e32 v60, v40, v19
	s_waitcnt vmcnt(1)
	v_mul_f32_e32 v62, v42, v21
	s_waitcnt lgkmcnt(0)
	v_mul_f32_e32 v63, v29, v23
	v_mul_f32_e32 v64, v28, v23
	;; [unrolled: 1-line block ×6, first 2 shown]
	s_waitcnt vmcnt(0)
	v_mul_f32_e32 v65, v31, v50
	v_mul_f32_e32 v66, v30, v50
	v_fmac_f32_e32 v45, v35, v24
	v_fma_f32 v35, v36, v26, -v55
	v_fmac_f32_e32 v56, v37, v26
	v_fma_f32 v37, v40, v18, -v59
	v_fmac_f32_e32 v60, v41, v18
	v_fmac_f32_e32 v62, v43, v20
	v_fma_f32 v28, v28, v22, -v63
	v_fmac_f32_e32 v64, v29, v22
	v_fma_f32 v34, v34, v24, -v44
	v_fma_f32 v36, v38, v16, -v57
	v_fmac_f32_e32 v58, v39, v16
	v_fma_f32 v38, v42, v20, -v61
	v_fma_f32 v29, v30, v49, -v65
	v_fmac_f32_e32 v66, v31, v49
	v_sub_f32_e32 v30, v32, v37
	v_sub_f32_e32 v31, v33, v60
	;; [unrolled: 1-line block ×8, first 2 shown]
	v_fma_f32 v43, v45, 2.0, -v39
	v_sub_f32_e32 v44, v30, v37
	v_add_f32_e32 v45, v31, v28
	v_fma_f32 v32, v32, 2.0, -v30
	v_fma_f32 v33, v33, 2.0, -v31
	;; [unrolled: 1-line block ×7, first 2 shown]
	v_sub_f32_e32 v55, v38, v40
	v_add_f32_e32 v56, v39, v29
	v_fma_f32 v30, v30, 2.0, -v44
	v_fma_f32 v31, v31, 2.0, -v45
	v_sub_f32_e32 v28, v32, v35
	v_sub_f32_e32 v29, v33, v41
	;; [unrolled: 1-line block ×4, first 2 shown]
	v_fma_f32 v57, v38, 2.0, -v55
	v_fma_f32 v58, v39, 2.0, -v56
	v_mov_b32_e32 v34, v44
	v_mov_b32_e32 v35, v45
	;; [unrolled: 1-line block ×4, first 2 shown]
	v_fma_f32 v59, v32, 2.0, -v28
	v_fma_f32 v60, v33, 2.0, -v29
	;; [unrolled: 1-line block ×4, first 2 shown]
	v_fmac_f32_e32 v34, 0x3f3504f3, v55
	v_fmac_f32_e32 v35, 0x3f3504f3, v56
	;; [unrolled: 1-line block ×4, first 2 shown]
	v_sub_f32_e32 v32, v28, v36
	v_add_f32_e32 v33, v29, v37
	v_sub_f32_e32 v36, v59, v40
	v_sub_f32_e32 v37, v60, v41
	v_fmac_f32_e32 v38, 0xbf3504f3, v58
	v_fmac_f32_e32 v39, 0x3f3504f3, v57
	v_fmac_f32_e32 v34, 0xbf3504f3, v56
	v_fmac_f32_e32 v35, 0x3f3504f3, v55
	v_fma_f32 v40, v28, 2.0, -v32
	v_fma_f32 v41, v29, 2.0, -v33
	;; [unrolled: 1-line block ×8, first 2 shown]
	s_and_saveexec_b64 s[8:9], s[2:3]
	s_cbranch_execz .LBB0_11
; %bb.10:
	v_add_u32_e32 v44, 0x800, v51
	ds_write2_b64 v51, v[28:29], v[30:31] offset1:77
	ds_write2_b64 v51, v[40:41], v[42:43] offset0:154 offset1:231
	ds_write2_b64 v44, v[36:37], v[38:39] offset0:52 offset1:129
	v_add_u32_e32 v44, 0xc00, v51
	ds_write2_b64 v44, v[32:33], v[34:35] offset0:78 offset1:155
.LBB0_11:
	s_or_b64 exec, exec, s[8:9]
	s_waitcnt lgkmcnt(0)
	s_barrier
	s_and_saveexec_b64 s[8:9], s[0:1]
	s_cbranch_execz .LBB0_13
; %bb.12:
	v_mov_b32_e32 v44, s13
	v_add_co_u32_e32 v59, vcc, s12, v51
	v_addc_co_u32_e32 v60, vcc, 0, v44, vcc
	v_add_co_u32_e32 v44, vcc, 0x1340, v59
	v_addc_co_u32_e32 v45, vcc, 0, v60, vcc
	;; [unrolled: 2-line block ×3, first 2 shown]
	global_load_dwordx2 v[57:58], v[55:56], off offset:832
	global_load_dwordx2 v[75:76], v[44:45], off offset:448
	;; [unrolled: 1-line block ×9, first 2 shown]
	v_add_co_u32_e32 v55, vcc, 0x2000, v59
	v_addc_co_u32_e32 v56, vcc, 0, v60, vcc
	global_load_dwordx2 v[91:92], v[55:56], off offset:1216
	global_load_dwordx2 v[93:94], v[44:45], off offset:4032
	ds_read_b64 v[44:45], v51
	v_add_u32_e32 v95, 0x800, v51
	v_add_u32_e32 v96, 0xc00, v51
	s_waitcnt vmcnt(10) lgkmcnt(0)
	v_mul_f32_e32 v55, v45, v58
	v_mul_f32_e32 v56, v44, v58
	v_fma_f32 v55, v44, v57, -v55
	v_fmac_f32_e32 v56, v45, v57
	ds_write_b64 v51, v[55:56]
	ds_read2_b64 v[55:58], v51 offset0:56 offset1:112
	ds_read2_b64 v[59:62], v51 offset0:168 offset1:224
	;; [unrolled: 1-line block ×5, first 2 shown]
	s_waitcnt vmcnt(9) lgkmcnt(4)
	v_mul_f32_e32 v44, v56, v76
	v_mul_f32_e32 v45, v55, v76
	s_waitcnt vmcnt(8)
	v_mul_f32_e32 v97, v58, v78
	v_mul_f32_e32 v76, v57, v78
	s_waitcnt vmcnt(7) lgkmcnt(3)
	v_mul_f32_e32 v98, v60, v80
	v_mul_f32_e32 v78, v59, v80
	s_waitcnt vmcnt(6)
	v_mul_f32_e32 v99, v62, v82
	v_mul_f32_e32 v80, v61, v82
	;; [unrolled: 6-line block ×4, first 2 shown]
	s_waitcnt vmcnt(0) lgkmcnt(0)
	v_mul_f32_e32 v104, v72, v94
	v_mul_f32_e32 v90, v71, v94
	v_mul_f32_e32 v105, v74, v92
	v_mul_f32_e32 v94, v73, v92
	v_fma_f32 v44, v55, v75, -v44
	v_fmac_f32_e32 v45, v56, v75
	v_fma_f32 v75, v57, v77, -v97
	v_fmac_f32_e32 v76, v58, v77
	;; [unrolled: 2-line block ×10, first 2 shown]
	ds_write2_b64 v51, v[44:45], v[75:76] offset0:56 offset1:112
	ds_write2_b64 v51, v[77:78], v[79:80] offset0:168 offset1:224
	;; [unrolled: 1-line block ×5, first 2 shown]
.LBB0_13:
	s_or_b64 exec, exec, s[8:9]
	s_waitcnt lgkmcnt(0)
	s_barrier
	s_and_saveexec_b64 s[8:9], s[0:1]
	s_cbranch_execz .LBB0_15
; %bb.14:
	v_add_u32_e32 v0, 0x400, v51
	ds_read2_b64 v[28:31], v51 offset1:56
	ds_read2_b64 v[40:43], v51 offset0:112 offset1:168
	ds_read2_b64 v[36:39], v0 offset0:96 offset1:152
	v_add_u32_e32 v0, 0x800, v51
	ds_read2_b64 v[32:35], v0 offset0:80 offset1:136
	ds_read2_b64 v[0:3], v0 offset0:192 offset1:248
	ds_read_b64 v[47:48], v51 offset:4480
.LBB0_15:
	s_or_b64 exec, exec, s[8:9]
	s_waitcnt lgkmcnt(0)
	v_sub_f32_e32 v65, v31, v48
	v_add_f32_e32 v55, v47, v30
	v_add_f32_e32 v68, v48, v31
	s_mov_b32 s10, 0xbf27a4f4
	v_mul_f32_e32 v75, 0xbf4178ce, v65
	v_sub_f32_e32 v66, v41, v3
	v_mul_f32_e32 v77, 0xbf27a4f4, v68
	v_fma_f32 v44, v55, s10, -v75
	v_add_f32_e32 v56, v2, v40
	v_add_f32_e32 v70, v3, v41
	s_mov_b32 s11, 0xbe11bafb
	v_mul_f32_e32 v76, 0x3f7d64f0, v66
	v_sub_f32_e32 v57, v30, v47
	v_add_f32_e32 v44, v28, v44
	v_mov_b32_e32 v45, v77
	v_mul_f32_e32 v79, 0xbe11bafb, v70
	v_fma_f32 v58, v56, s11, -v76
	v_fmac_f32_e32 v45, 0xbf4178ce, v57
	v_sub_f32_e32 v59, v40, v2
	v_add_f32_e32 v44, v58, v44
	v_mov_b32_e32 v58, v79
	v_add_f32_e32 v45, v29, v45
	v_fmac_f32_e32 v58, 0x3f7d64f0, v59
	v_sub_f32_e32 v67, v43, v1
	v_add_f32_e32 v45, v58, v45
	v_add_f32_e32 v58, v0, v42
	v_add_f32_e32 v72, v1, v43
	s_mov_b32 s16, 0x3f575c64
	v_mul_f32_e32 v78, 0xbf0a6770, v67
	v_mul_f32_e32 v81, 0x3f575c64, v72
	v_fma_f32 v60, v58, s16, -v78
	v_sub_f32_e32 v61, v42, v0
	v_add_f32_e32 v44, v60, v44
	v_mov_b32_e32 v60, v81
	v_fmac_f32_e32 v60, 0xbf0a6770, v61
	v_sub_f32_e32 v69, v37, v35
	v_add_f32_e32 v45, v60, v45
	v_add_f32_e32 v60, v34, v36
	v_add_f32_e32 v73, v35, v37
	s_mov_b32 s17, 0xbf75a155
	v_mul_f32_e32 v80, 0xbe903f40, v69
	v_mul_f32_e32 v83, 0xbf75a155, v73
	v_fma_f32 v62, v60, s17, -v80
	v_sub_f32_e32 v63, v36, v34
	v_add_f32_e32 v44, v62, v44
	v_mov_b32_e32 v62, v83
	;; [unrolled: 12-line block ×3, first 2 shown]
	v_fmac_f32_e32 v85, 0x3f68dda4, v64
	v_add_f32_e32 v45, v85, v45
	s_barrier
	s_and_saveexec_b64 s[8:9], s[0:1]
	s_cbranch_execz .LBB0_17
; %bb.16:
	v_mul_f32_e32 v89, 0xbf27a4f4, v55
	v_mul_f32_e32 v91, 0xbe11bafb, v56
	v_add_f32_e32 v75, v89, v75
	v_mul_f32_e32 v90, 0xbf4178ce, v57
	v_mul_f32_e32 v93, 0x3f575c64, v58
	v_add_f32_e32 v75, v28, v75
	v_add_f32_e32 v76, v91, v76
	v_mul_f32_e32 v92, 0x3f7d64f0, v59
	v_mul_f32_e32 v95, 0xbf75a155, v60
	v_sub_f32_e32 v77, v77, v90
	v_add_f32_e32 v75, v76, v75
	v_add_f32_e32 v76, v93, v78
	v_mul_f32_e32 v94, 0xbf0a6770, v61
	v_mul_f32_e32 v97, 0x3ed4b147, v62
	v_add_f32_e32 v77, v29, v77
	v_sub_f32_e32 v79, v79, v92
	v_add_f32_e32 v75, v76, v75
	v_add_f32_e32 v76, v95, v80
	v_mul_f32_e32 v96, 0xbe903f40, v63
	v_add_f32_e32 v77, v79, v77
	v_sub_f32_e32 v79, v81, v94
	v_add_f32_e32 v75, v76, v75
	v_add_f32_e32 v76, v97, v82
	v_mul_f32_e32 v98, 0x3f68dda4, v64
	v_add_f32_e32 v77, v79, v77
	v_sub_f32_e32 v79, v83, v96
	v_add_f32_e32 v76, v76, v75
	v_mul_f32_e32 v75, 0xbe11bafb, v68
	v_add_f32_e32 v77, v79, v77
	v_sub_f32_e32 v79, v84, v98
	v_mov_b32_e32 v78, v75
	v_mul_f32_e32 v82, 0xbf75a155, v70
	v_add_f32_e32 v77, v79, v77
	v_fmac_f32_e32 v78, 0x3f7d64f0, v57
	v_mov_b32_e32 v79, v82
	v_add_f32_e32 v78, v29, v78
	v_fmac_f32_e32 v79, 0xbe903f40, v59
	v_mul_f32_e32 v83, 0x3ed4b147, v72
	v_add_f32_e32 v78, v79, v78
	v_mov_b32_e32 v79, v83
	v_fmac_f32_e32 v79, 0xbf68dda4, v61
	v_mul_f32_e32 v84, 0x3f575c64, v73
	v_add_f32_e32 v78, v79, v78
	v_mov_b32_e32 v79, v84
	;; [unrolled: 4-line block ×4, first 2 shown]
	v_mul_f32_e32 v91, 0x3e903f40, v66
	v_fmac_f32_e32 v78, 0xbe11bafb, v55
	v_mov_b32_e32 v80, v91
	v_add_f32_e32 v78, v28, v78
	v_fmac_f32_e32 v80, 0xbf75a155, v56
	v_mul_f32_e32 v92, 0x3f68dda4, v67
	v_add_f32_e32 v78, v80, v78
	v_mov_b32_e32 v80, v92
	v_fmac_f32_e32 v80, 0x3ed4b147, v58
	v_mul_f32_e32 v93, 0xbf0a6770, v69
	v_add_f32_e32 v78, v80, v78
	v_mov_b32_e32 v80, v93
	;; [unrolled: 4-line block ×3, first 2 shown]
	v_mul_f32_e32 v87, 0xbe903f40, v57
	v_fmac_f32_e32 v80, 0xbf27a4f4, v62
	v_mul_f32_e32 v95, 0x3ed4b147, v68
	v_mov_b32_e32 v85, v87
	v_mul_f32_e32 v88, 0x3f0a6770, v59
	v_add_f32_e32 v78, v80, v78
	v_mov_b32_e32 v80, v95
	v_mul_f32_e32 v96, 0xbf27a4f4, v70
	v_fmac_f32_e32 v85, 0xbf75a155, v68
	v_mov_b32_e32 v86, v88
	v_fmac_f32_e32 v80, 0x3f68dda4, v57
	v_mov_b32_e32 v81, v96
	v_add_f32_e32 v85, v29, v85
	v_fmac_f32_e32 v86, 0x3f575c64, v70
	v_mul_f32_e32 v99, 0xbf4178ce, v61
	v_add_f32_e32 v80, v29, v80
	v_fmac_f32_e32 v81, 0x3f4178ce, v59
	v_mul_f32_e32 v97, 0xbf75a155, v72
	v_add_f32_e32 v31, v31, v29
	v_add_f32_e32 v85, v86, v85
	v_mov_b32_e32 v86, v99
	v_add_f32_e32 v80, v81, v80
	v_mov_b32_e32 v81, v97
	v_add_f32_e32 v31, v41, v31
	v_fmac_f32_e32 v86, 0xbf27a4f4, v72
	v_mul_f32_e32 v100, 0x3f68dda4, v63
	v_fma_f32 v87, v68, s17, -v87
	v_fmac_f32_e32 v81, 0xbe903f40, v61
	v_mul_f32_e32 v98, 0xbe11bafb, v73
	v_add_f32_e32 v31, v43, v31
	v_add_f32_e32 v85, v86, v85
	v_mov_b32_e32 v86, v100
	v_add_f32_e32 v87, v29, v87
	v_fma_f32 v88, v70, s16, -v88
	v_add_f32_e32 v80, v81, v80
	v_mov_b32_e32 v81, v98
	v_add_f32_e32 v31, v37, v31
	v_fmac_f32_e32 v86, 0x3ed4b147, v73
	v_mul_f32_e32 v101, 0xbf7d64f0, v64
	v_add_f32_e32 v87, v88, v87
	v_fma_f32 v88, v72, s10, -v99
	v_fmac_f32_e32 v81, 0xbf7d64f0, v63
	v_mul_f32_e32 v99, 0x3f575c64, v74
	v_add_f32_e32 v31, v39, v31
	v_add_f32_e32 v85, v86, v85
	v_mov_b32_e32 v86, v101
	v_add_f32_e32 v80, v81, v80
	v_mov_b32_e32 v81, v99
	v_add_f32_e32 v31, v33, v31
	v_fmac_f32_e32 v86, 0xbe11bafb, v74
	v_mul_f32_e32 v102, 0xbe903f40, v65
	v_add_f32_e32 v87, v88, v87
	v_fma_f32 v88, v73, s18, -v100
	v_fmac_f32_e32 v81, 0xbf0a6770, v64
	v_mul_f32_e32 v100, 0xbf68dda4, v65
	v_add_f32_e32 v31, v35, v31
	v_add_f32_e32 v86, v86, v85
	v_fma_f32 v85, v55, s17, -v102
	v_add_f32_e32 v87, v88, v87
	v_fma_f32 v88, v74, s11, -v101
	v_fmac_f32_e32 v102, 0xbf75a155, v55
	v_add_f32_e32 v81, v81, v80
	v_mov_b32_e32 v80, v100
	v_mul_f32_e32 v101, 0xbf4178ce, v66
	v_add_f32_e32 v1, v1, v31
	v_add_f32_e32 v88, v88, v87
	;; [unrolled: 1-line block ×3, first 2 shown]
	v_fmac_f32_e32 v80, 0x3ed4b147, v55
	v_mov_b32_e32 v102, v101
	v_add_f32_e32 v1, v3, v1
	v_add_f32_e32 v3, v30, v28
	v_mul_f32_e32 v103, 0x3f0a6770, v66
	v_add_f32_e32 v80, v28, v80
	v_fmac_f32_e32 v102, 0xbf27a4f4, v56
	v_add_f32_e32 v3, v40, v3
	v_fma_f32 v104, v56, s16, -v103
	v_fmac_f32_e32 v103, 0x3f575c64, v56
	v_add_f32_e32 v80, v102, v80
	v_mul_f32_e32 v102, 0x3e903f40, v67
	v_add_f32_e32 v3, v42, v3
	v_add_f32_e32 v85, v28, v85
	;; [unrolled: 1-line block ×3, first 2 shown]
	v_mov_b32_e32 v103, v102
	v_add_f32_e32 v3, v36, v3
	v_add_f32_e32 v85, v104, v85
	v_mul_f32_e32 v104, 0xbf4178ce, v67
	v_fmac_f32_e32 v103, 0xbf75a155, v58
	v_add_f32_e32 v3, v38, v3
	v_fma_f32 v105, v58, s10, -v104
	v_fmac_f32_e32 v104, 0xbf27a4f4, v58
	v_add_f32_e32 v80, v103, v80
	v_mul_f32_e32 v103, 0x3f7d64f0, v69
	v_add_f32_e32 v3, v32, v3
	v_add_f32_e32 v87, v104, v87
	v_mov_b32_e32 v104, v103
	v_add_f32_e32 v3, v34, v3
	v_add_f32_e32 v85, v105, v85
	v_mul_f32_e32 v105, 0x3f68dda4, v69
	v_fmac_f32_e32 v104, 0xbe11bafb, v60
	v_add_f32_e32 v0, v0, v3
	v_fmac_f32_e32 v75, 0xbf7d64f0, v57
	v_fma_f32 v106, v60, s18, -v105
	v_fmac_f32_e32 v105, 0x3ed4b147, v60
	v_add_f32_e32 v80, v104, v80
	v_mul_f32_e32 v104, 0x3f0a6770, v71
	v_add_f32_e32 v0, v2, v0
	v_add_f32_e32 v2, v29, v75
	v_fmac_f32_e32 v82, 0x3e903f40, v59
	v_add_f32_e32 v87, v105, v87
	v_mov_b32_e32 v105, v104
	v_add_f32_e32 v2, v82, v2
	v_fmac_f32_e32 v83, 0x3f68dda4, v61
	v_fmac_f32_e32 v105, 0x3f575c64, v62
	v_add_f32_e32 v2, v83, v2
	v_fmac_f32_e32 v84, 0xbf0a6770, v63
	v_add_f32_e32 v85, v106, v85
	v_mul_f32_e32 v106, 0xbf7d64f0, v71
	v_add_f32_e32 v80, v105, v80
	v_mul_f32_e32 v105, 0x3f575c64, v68
	v_add_f32_e32 v2, v84, v2
	v_fmac_f32_e32 v89, 0xbf4178ce, v64
	v_fma_f32 v107, v62, s11, -v106
	v_fmac_f32_e32 v106, 0xbe11bafb, v62
	v_mov_b32_e32 v68, v105
	v_mul_f32_e32 v70, 0x3ed4b147, v70
	v_add_f32_e32 v3, v89, v2
	v_fma_f32 v2, v55, s11, -v90
	v_add_f32_e32 v87, v106, v87
	v_fmac_f32_e32 v68, 0x3f0a6770, v57
	v_mov_b32_e32 v106, v70
	v_add_f32_e32 v2, v28, v2
	v_fma_f32 v30, v56, s17, -v91
	v_add_f32_e32 v68, v29, v68
	v_fmac_f32_e32 v106, 0x3f68dda4, v59
	v_mul_f32_e32 v72, 0xbe11bafb, v72
	v_add_f32_e32 v2, v30, v2
	v_fma_f32 v30, v58, s18, -v92
	v_add_f32_e32 v68, v106, v68
	v_mov_b32_e32 v106, v72
	v_add_f32_e32 v2, v30, v2
	v_fma_f32 v30, v60, s16, -v93
	v_fmac_f32_e32 v106, 0x3f7d64f0, v61
	v_mul_f32_e32 v73, 0xbf27a4f4, v73
	v_add_f32_e32 v2, v30, v2
	v_fma_f32 v30, v62, s10, -v94
	v_fmac_f32_e32 v95, 0xbf68dda4, v57
	v_add_f32_e32 v68, v106, v68
	v_mov_b32_e32 v106, v73
	v_add_f32_e32 v2, v30, v2
	v_add_f32_e32 v30, v29, v95
	v_fmac_f32_e32 v96, 0xbf4178ce, v59
	v_fmac_f32_e32 v106, 0x3f4178ce, v63
	v_mul_f32_e32 v74, 0xbf75a155, v74
	v_add_f32_e32 v30, v96, v30
	v_fmac_f32_e32 v97, 0x3e903f40, v61
	v_add_f32_e32 v68, v106, v68
	v_mov_b32_e32 v106, v74
	v_add_f32_e32 v30, v97, v30
	v_fmac_f32_e32 v98, 0x3f7d64f0, v63
	v_fmac_f32_e32 v106, 0x3e903f40, v64
	v_mul_f32_e32 v65, 0xbf0a6770, v65
	v_add_f32_e32 v30, v98, v30
	v_fmac_f32_e32 v99, 0x3f0a6770, v64
	v_add_f32_e32 v68, v106, v68
	v_mov_b32_e32 v106, v65
	v_mul_f32_e32 v66, 0xbf68dda4, v66
	v_add_f32_e32 v31, v99, v30
	v_fma_f32 v30, v55, s18, -v100
	v_add_f32_e32 v85, v107, v85
	v_fmac_f32_e32 v106, 0x3f575c64, v55
	v_mov_b32_e32 v107, v66
	v_add_f32_e32 v30, v28, v30
	v_fma_f32 v32, v56, s10, -v101
	v_add_f32_e32 v106, v28, v106
	v_fmac_f32_e32 v107, 0x3ed4b147, v56
	v_add_f32_e32 v30, v32, v30
	v_fma_f32 v32, v58, s17, -v102
	v_add_f32_e32 v106, v107, v106
	v_mul_f32_e32 v107, 0xbf7d64f0, v67
	v_add_f32_e32 v30, v32, v30
	v_fma_f32 v32, v60, s11, -v103
	v_mov_b32_e32 v67, v107
	v_add_f32_e32 v30, v32, v30
	v_fma_f32 v32, v62, s16, -v104
	v_fmac_f32_e32 v67, 0xbe11bafb, v58
	v_mul_f32_e32 v69, 0xbf4178ce, v69
	v_add_f32_e32 v30, v32, v30
	v_fma_f32 v32, v55, s16, -v65
	v_add_f32_e32 v67, v67, v106
	v_mov_b32_e32 v106, v69
	v_fmac_f32_e32 v105, 0xbf0a6770, v57
	v_add_f32_e32 v28, v28, v32
	v_fma_f32 v32, v56, s18, -v66
	v_fmac_f32_e32 v106, 0xbf27a4f4, v60
	v_mul_f32_e32 v71, 0xbe903f40, v71
	v_add_f32_e32 v29, v29, v105
	v_fmac_f32_e32 v70, 0xbf68dda4, v59
	v_add_f32_e32 v28, v32, v28
	v_fma_f32 v32, v58, s11, -v107
	v_add_f32_e32 v67, v106, v67
	v_mov_b32_e32 v106, v71
	v_add_f32_e32 v29, v70, v29
	v_fmac_f32_e32 v72, 0xbf7d64f0, v61
	v_add_f32_e32 v28, v32, v28
	v_fma_f32 v32, v60, s10, -v69
	v_fmac_f32_e32 v106, 0xbf75a155, v62
	v_add_f32_e32 v29, v72, v29
	v_fmac_f32_e32 v73, 0xbf4178ce, v63
	v_add_f32_e32 v28, v32, v28
	v_fma_f32 v32, v62, s17, -v71
	v_add_f32_e32 v67, v106, v67
	v_add_f32_e32 v1, v48, v1
	;; [unrolled: 1-line block ×4, first 2 shown]
	v_fmac_f32_e32 v74, 0xbe903f40, v64
	v_add_f32_e32 v28, v32, v28
	v_lshlrev_b32_e32 v32, 3, v53
	v_add_f32_e32 v29, v74, v29
	ds_write2_b64 v32, v[0:1], v[67:68] offset1:1
	ds_write2_b64 v32, v[80:81], v[78:79] offset0:2 offset1:3
	ds_write2_b64 v32, v[76:77], v[87:88] offset0:4 offset1:5
	;; [unrolled: 1-line block ×4, first 2 shown]
	ds_write_b64 v32, v[28:29] offset:80
.LBB0_17:
	s_or_b64 exec, exec, s[8:9]
	s_waitcnt lgkmcnt(0)
	s_barrier
	ds_read2_b64 v[0:3], v51 offset1:88
	v_add_u32_e32 v28, 0x400, v51
	ds_read2_b64 v[29:32], v28 offset0:48 offset1:136
	v_add_u32_e32 v28, 0x800, v51
	ds_read2_b64 v[33:36], v28 offset0:96 offset1:184
	ds_read_b64 v[37:38], v51 offset:4224
	s_waitcnt lgkmcnt(3)
	v_mul_f32_e32 v39, v13, v3
	v_fmac_f32_e32 v39, v12, v2
	v_mul_f32_e32 v2, v13, v2
	s_waitcnt lgkmcnt(2)
	v_mul_f32_e32 v13, v9, v32
	v_mul_f32_e32 v9, v9, v31
	v_fmac_f32_e32 v13, v8, v31
	v_fma_f32 v8, v8, v32, -v9
	s_waitcnt lgkmcnt(1)
	v_mul_f32_e32 v9, v11, v34
	v_mul_f32_e32 v11, v11, v33
	v_fmac_f32_e32 v9, v10, v33
	v_fma_f32 v10, v10, v34, -v11
	v_mul_f32_e32 v11, v5, v36
	v_mul_f32_e32 v5, v5, v35
	v_fma_f32 v2, v12, v3, -v2
	v_mul_f32_e32 v3, v15, v30
	v_fmac_f32_e32 v11, v4, v35
	v_fma_f32 v4, v4, v36, -v5
	s_waitcnt lgkmcnt(0)
	v_mul_f32_e32 v5, v7, v38
	v_mul_f32_e32 v7, v7, v37
	v_fmac_f32_e32 v3, v14, v29
	v_mul_f32_e32 v12, v15, v29
	v_fmac_f32_e32 v5, v6, v37
	v_fma_f32 v6, v6, v38, -v7
	v_fma_f32 v12, v14, v30, -v12
	v_add_f32_e32 v7, v39, v5
	v_add_f32_e32 v14, v2, v6
	v_sub_f32_e32 v2, v2, v6
	v_add_f32_e32 v6, v3, v11
	v_add_f32_e32 v15, v12, v4
	v_sub_f32_e32 v3, v3, v11
	v_sub_f32_e32 v4, v12, v4
	v_add_f32_e32 v11, v13, v9
	v_add_f32_e32 v12, v8, v10
	v_sub_f32_e32 v8, v10, v8
	v_add_f32_e32 v10, v6, v7
	v_sub_f32_e32 v9, v9, v13
	v_add_f32_e32 v13, v15, v14
	v_add_f32_e32 v10, v11, v10
	v_sub_f32_e32 v29, v6, v7
	v_sub_f32_e32 v7, v7, v11
	v_sub_f32_e32 v6, v11, v6
	v_add_f32_e32 v11, v12, v13
	v_add_f32_e32 v0, v0, v10
	v_sub_f32_e32 v30, v15, v14
	v_sub_f32_e32 v14, v14, v12
	v_sub_f32_e32 v15, v12, v15
	v_add_f32_e32 v1, v1, v11
	v_mov_b32_e32 v35, v0
	v_sub_f32_e32 v5, v39, v5
	v_add_f32_e32 v31, v9, v3
	v_add_f32_e32 v32, v8, v4
	v_sub_f32_e32 v33, v9, v3
	v_sub_f32_e32 v34, v8, v4
	v_mul_f32_e32 v12, 0x3f4a47b2, v14
	v_mul_f32_e32 v13, 0x3d64c772, v6
	;; [unrolled: 1-line block ×3, first 2 shown]
	v_fmac_f32_e32 v35, 0xbf955555, v10
	v_mov_b32_e32 v10, v1
	s_mov_b32 s9, 0x3f3bfb3b
	v_sub_f32_e32 v9, v5, v9
	v_sub_f32_e32 v8, v2, v8
	;; [unrolled: 1-line block ×4, first 2 shown]
	v_add_f32_e32 v5, v31, v5
	v_add_f32_e32 v2, v32, v2
	v_mul_f32_e32 v7, 0x3f4a47b2, v7
	v_mul_f32_e32 v31, 0x3f08b237, v33
	;; [unrolled: 1-line block ×3, first 2 shown]
	s_mov_b32 s8, 0xbf5ff5aa
	v_fmac_f32_e32 v10, 0xbf955555, v11
	v_fma_f32 v11, v29, s9, -v13
	v_fma_f32 v13, v30, s9, -v14
	s_mov_b32 s9, 0xbf3bfb3b
	v_mul_f32_e32 v33, 0xbf5ff5aa, v3
	v_mul_f32_e32 v34, 0xbf5ff5aa, v4
	v_fma_f32 v14, v29, s9, -v7
	v_fmac_f32_e32 v7, 0x3d64c772, v6
	v_fma_f32 v6, v30, s9, -v12
	v_fmac_f32_e32 v12, 0x3d64c772, v15
	v_fma_f32 v15, v3, s8, -v31
	v_fma_f32 v29, v4, s8, -v32
	s_mov_b32 s8, 0x3eae86e6
	v_fmac_f32_e32 v31, 0xbeae86e6, v9
	v_fmac_f32_e32 v32, 0xbeae86e6, v8
	v_fma_f32 v30, v9, s8, -v33
	v_fma_f32 v33, v8, s8, -v34
	v_add_f32_e32 v34, v7, v35
	v_add_f32_e32 v12, v12, v10
	;; [unrolled: 1-line block ×6, first 2 shown]
	v_fmac_f32_e32 v31, 0xbee1c552, v5
	v_fmac_f32_e32 v32, 0xbee1c552, v2
	v_fmac_f32_e32 v15, 0xbee1c552, v5
	v_fmac_f32_e32 v29, 0xbee1c552, v2
	v_fmac_f32_e32 v30, 0xbee1c552, v5
	v_fmac_f32_e32 v33, 0xbee1c552, v2
	v_add_f32_e32 v2, v32, v34
	v_sub_f32_e32 v3, v12, v31
	v_add_f32_e32 v4, v33, v11
	v_sub_f32_e32 v5, v13, v30
	v_sub_f32_e32 v6, v8, v29
	v_add_f32_e32 v7, v15, v9
	v_add_f32_e32 v8, v29, v8
	v_sub_f32_e32 v9, v9, v15
	v_sub_f32_e32 v10, v11, v33
	v_add_f32_e32 v11, v30, v13
	v_sub_f32_e32 v42, v34, v32
	v_add_f32_e32 v43, v31, v12
	s_barrier
	ds_write2_b64 v54, v[0:1], v[2:3] offset1:11
	ds_write2_b64 v54, v[4:5], v[6:7] offset0:22 offset1:33
	ds_write2_b64 v54, v[8:9], v[10:11] offset0:44 offset1:55
	ds_write_b64 v54, v[42:43] offset:528
	s_waitcnt lgkmcnt(0)
	s_barrier
	s_and_saveexec_b64 s[8:9], s[2:3]
	s_cbranch_execz .LBB0_19
; %bb.18:
	ds_read2_b64 v[0:3], v51 offset1:77
	ds_read2_b64 v[4:7], v51 offset0:154 offset1:231
	ds_read2_b64 v[8:11], v28 offset0:52 offset1:129
	v_add_u32_e32 v12, 0xc00, v51
	ds_read2_b64 v[42:45], v12 offset0:78 offset1:155
.LBB0_19:
	s_or_b64 exec, exec, s[8:9]
	s_and_saveexec_b64 s[8:9], s[2:3]
	s_cbranch_execz .LBB0_21
; %bb.20:
	s_waitcnt lgkmcnt(1)
	v_mul_f32_e32 v12, v19, v8
	v_fma_f32 v12, v18, v9, -v12
	v_mul_f32_e32 v31, v17, v7
	v_sub_f32_e32 v13, v1, v12
	v_mul_f32_e32 v14, v27, v5
	s_waitcnt lgkmcnt(0)
	v_mul_f32_e32 v12, v23, v43
	v_fmac_f32_e32 v31, v16, v6
	v_mul_f32_e32 v6, v17, v6
	v_fmac_f32_e32 v14, v26, v4
	v_fmac_f32_e32 v12, v22, v42
	v_fma_f32 v6, v16, v7, -v6
	v_mul_f32_e32 v16, v25, v3
	v_sub_f32_e32 v15, v14, v12
	v_mul_f32_e32 v12, v25, v2
	v_fmac_f32_e32 v16, v24, v2
	v_mul_f32_e32 v2, v21, v11
	v_fmac_f32_e32 v2, v20, v10
	v_fma_f32 v29, v24, v3, -v12
	v_mul_f32_e32 v12, v21, v10
	v_sub_f32_e32 v10, v16, v2
	v_mul_f32_e32 v2, v27, v4
	v_fma_f32 v4, v26, v5, -v2
	v_mul_f32_e32 v2, v23, v42
	v_fma_f32 v2, v22, v43, -v2
	v_fma_f32 v12, v20, v11, -v12
	v_sub_f32_e32 v5, v4, v2
	v_mul_f32_e32 v2, v19, v9
	v_sub_f32_e32 v30, v29, v12
	v_mul_f32_e32 v12, v50, v45
	v_mul_f32_e32 v7, v50, v44
	v_fmac_f32_e32 v2, v18, v8
	v_fmac_f32_e32 v12, v49, v44
	v_fma_f32 v7, v49, v45, -v7
	v_sub_f32_e32 v8, v0, v2
	v_sub_f32_e32 v28, v13, v15
	;; [unrolled: 1-line block ×4, first 2 shown]
	v_fma_f32 v23, v0, 2.0, -v8
	v_fma_f32 v0, v14, 2.0, -v15
	v_sub_f32_e32 v33, v30, v32
	v_sub_f32_e32 v15, v23, v0
	v_fma_f32 v0, v6, 2.0, -v7
	v_fma_f32 v6, v13, 2.0, -v28
	v_add_f32_e32 v17, v7, v10
	v_fma_f32 v19, v1, 2.0, -v13
	v_fma_f32 v13, v30, 2.0, -v33
	v_mov_b32_e32 v7, v6
	v_add_f32_e32 v18, v5, v8
	v_fma_f32 v21, v16, 2.0, -v10
	v_fmac_f32_e32 v7, 0xbf3504f3, v13
	v_fma_f32 v10, v10, 2.0, -v17
	v_fmac_f32_e32 v7, 0xbf3504f3, v10
	v_fma_f32 v8, v8, 2.0, -v18
	v_fma_f32 v1, v4, 2.0, -v5
	;; [unrolled: 1-line block ×4, first 2 shown]
	v_mov_b32_e32 v6, v8
	v_sub_f32_e32 v20, v19, v1
	v_sub_f32_e32 v16, v14, v0
	v_fmac_f32_e32 v6, 0xbf3504f3, v10
	v_fma_f32 v1, v31, 2.0, -v32
	v_fmac_f32_e32 v6, 0x3f3504f3, v13
	v_fma_f32 v10, v19, 2.0, -v20
	v_fma_f32 v13, v14, 2.0, -v16
	v_mov_b32_e32 v11, v18
	v_sub_f32_e32 v22, v21, v1
	v_sub_f32_e32 v14, v10, v13
	v_mov_b32_e32 v12, v28
	v_fmac_f32_e32 v11, 0x3f3504f3, v17
	v_add_f32_e32 v0, v15, v16
	v_fma_f32 v16, v10, 2.0, -v14
	v_fma_f32 v10, v23, 2.0, -v15
	;; [unrolled: 1-line block ×3, first 2 shown]
	v_fmac_f32_e32 v12, 0x3f3504f3, v33
	v_fmac_f32_e32 v11, 0x3f3504f3, v33
	v_sub_f32_e32 v13, v10, v13
	v_fmac_f32_e32 v12, 0xbf3504f3, v17
	v_fma_f32 v2, v18, 2.0, -v11
	v_sub_f32_e32 v1, v20, v22
	v_fma_f32 v4, v15, 2.0, -v0
	v_fma_f32 v8, v8, 2.0, -v6
	;; [unrolled: 1-line block ×5, first 2 shown]
	ds_write2_b64 v51, v[15:16], v[8:9] offset1:77
	ds_write2_b64 v51, v[4:5], v[2:3] offset0:154 offset1:231
	v_add_u32_e32 v2, 0x800, v51
	ds_write2_b64 v2, v[13:14], v[6:7] offset0:52 offset1:129
	v_add_u32_e32 v2, 0xc00, v51
	ds_write2_b64 v2, v[0:1], v[11:12] offset0:78 offset1:155
.LBB0_21:
	s_or_b64 exec, exec, s[8:9]
	s_waitcnt lgkmcnt(0)
	s_barrier
	s_and_b64 exec, exec, s[0:1]
	s_cbranch_execz .LBB0_23
; %bb.22:
	global_load_dwordx2 v[8:9], v51, s[12:13]
	global_load_dwordx2 v[10:11], v51, s[12:13] offset:448
	global_load_dwordx2 v[12:13], v51, s[12:13] offset:896
	;; [unrolled: 1-line block ×3, first 2 shown]
	ds_read_b64 v[16:17], v51
	ds_read2_b64 v[0:3], v51 offset0:56 offset1:112
	ds_read2_b64 v[4:7], v51 offset0:168 offset1:224
	global_load_dwordx2 v[22:23], v51, s[12:13] offset:1792
	global_load_dwordx2 v[24:25], v51, s[12:13] offset:2240
	;; [unrolled: 1-line block ×3, first 2 shown]
	v_mad_u64_u32 v[18:19], s[0:1], s6, v46, 0
	v_mad_u64_u32 v[20:21], s[2:3], s4, v52, 0
	v_mov_b32_e32 v28, s13
	s_mul_i32 s3, s5, 0x1c0
	s_mul_hi_u32 s6, s4, 0x1c0
	v_add_co_u32_e32 v32, vcc, s12, v51
	v_addc_co_u32_e32 v33, vcc, 0, v28, vcc
	s_add_i32 s3, s6, s3
	v_mad_u64_u32 v[28:29], s[6:7], s7, v46, v[19:20]
	v_mov_b32_e32 v31, s15
	s_mul_i32 s2, s4, 0x1c0
	v_mov_b32_e32 v19, v28
	v_lshlrev_b64 v[18:19], 3, v[18:19]
	v_mov_b32_e32 v34, s3
	v_add_co_u32_e32 v36, vcc, s14, v18
	v_addc_co_u32_e32 v37, vcc, v31, v19, vcc
	s_mov_b32 s0, 0x606a63be
	s_mov_b32 s1, 0x3f5a98ef
	v_mov_b32_e32 v35, s3
	s_waitcnt vmcnt(5) lgkmcnt(1)
	v_mul_f32_e32 v31, v1, v11
	v_mul_f32_e32 v11, v0, v11
	s_waitcnt vmcnt(3) lgkmcnt(0)
	v_mul_f32_e32 v38, v5, v15
	v_mul_f32_e32 v15, v4, v15
	s_waitcnt vmcnt(2)
	v_mad_u64_u32 v[29:30], s[6:7], s5, v52, v[21:22]
	v_mov_b32_e32 v30, s3
	v_fmac_f32_e32 v31, v0, v10
	v_mov_b32_e32 v21, v29
	v_lshlrev_b64 v[20:21], 3, v[20:21]
	v_fmac_f32_e32 v38, v4, v14
	v_add_co_u32_e32 v18, vcc, v36, v20
	v_addc_co_u32_e32 v19, vcc, v37, v21, vcc
	v_add_co_u32_e32 v20, vcc, s2, v18
	v_addc_co_u32_e32 v21, vcc, v19, v34, vcc
	;; [unrolled: 2-line block ×3, first 2 shown]
	v_mul_f32_e32 v30, v17, v9
	v_mul_f32_e32 v9, v16, v9
	;; [unrolled: 1-line block ×4, first 2 shown]
	v_fmac_f32_e32 v30, v16, v8
	v_fma_f32 v8, v8, v17, -v9
	v_fma_f32 v9, v10, v1, -v11
	v_fmac_f32_e32 v34, v2, v12
	v_fma_f32 v16, v12, v3, -v13
	v_cvt_f64_f32_e32 v[0:1], v30
	v_cvt_f64_f32_e32 v[2:3], v8
	v_fma_f32 v39, v14, v5, -v15
	v_cvt_f64_f32_e32 v[4:5], v31
	v_cvt_f64_f32_e32 v[8:9], v9
	global_load_dwordx2 v[10:11], v51, s[12:13] offset:3136
	v_cvt_f64_f32_e32 v[12:13], v34
	v_cvt_f64_f32_e32 v[14:15], v16
	v_mul_f64 v[0:1], v[0:1], s[0:1]
	v_mul_f64 v[2:3], v[2:3], s[0:1]
	;; [unrolled: 1-line block ×6, first 2 shown]
	v_cvt_f64_f32_e32 v[16:17], v38
	v_cvt_f64_f32_e32 v[30:31], v39
	v_cvt_f32_f64_e32 v0, v[0:1]
	v_cvt_f32_f64_e32 v1, v[2:3]
	v_mul_f64 v[16:17], v[16:17], s[0:1]
	v_mul_f64 v[30:31], v[30:31], s[0:1]
	v_cvt_f32_f64_e32 v2, v[4:5]
	v_cvt_f32_f64_e32 v3, v[8:9]
	;; [unrolled: 1-line block ×4, first 2 shown]
	global_store_dwordx2 v[18:19], v[0:1], off
	global_store_dwordx2 v[20:21], v[2:3], off
	;; [unrolled: 1-line block ×3, first 2 shown]
	v_mul_f32_e32 v0, v7, v23
	v_fmac_f32_e32 v0, v6, v22
	global_load_dwordx2 v[4:5], v51, s[12:13] offset:3584
	v_cvt_f64_f32_e32 v[12:13], v0
	v_mul_f32_e32 v0, v6, v23
	v_fma_f32 v0, v22, v7, -v0
	v_cvt_f32_f64_e32 v8, v[16:17]
	global_load_dwordx2 v[16:17], v51, s[12:13] offset:4032
	v_cvt_f32_f64_e32 v9, v[30:31]
	v_cvt_f64_f32_e32 v[6:7], v0
	v_add_u32_e32 v20, 0x800, v51
	ds_read2_b64 v[0:3], v20 offset0:24 offset1:80
	v_add_co_u32_e32 v14, vcc, s2, v28
	v_addc_co_u32_e32 v15, vcc, v29, v35, vcc
	global_store_dwordx2 v[14:15], v[8:9], off
	v_mul_f64 v[8:9], v[12:13], s[0:1]
	v_mul_f64 v[6:7], v[6:7], s[0:1]
	s_waitcnt vmcnt(8) lgkmcnt(0)
	v_mul_f32_e32 v12, v1, v25
	v_fmac_f32_e32 v12, v0, v24
	v_cvt_f64_f32_e32 v[12:13], v12
	s_movk_i32 s6, 0x1000
	v_mul_f32_e32 v0, v0, v25
	v_fma_f32 v0, v24, v1, -v0
	v_cvt_f32_f64_e32 v8, v[8:9]
	v_cvt_f32_f64_e32 v9, v[6:7]
	v_mul_f64 v[6:7], v[12:13], s[0:1]
	v_add_co_u32_e32 v12, vcc, s6, v32
	v_addc_co_u32_e32 v13, vcc, 0, v33, vcc
	global_load_dwordx2 v[12:13], v[12:13], off offset:384
	v_cvt_f64_f32_e32 v[0:1], v0
	v_mov_b32_e32 v18, s3
	v_add_co_u32_e32 v14, vcc, s2, v14
	v_mul_f64 v[0:1], v[0:1], s[0:1]
	v_cvt_f32_f64_e32 v6, v[6:7]
	v_addc_co_u32_e32 v15, vcc, v15, v18, vcc
	global_store_dwordx2 v[14:15], v[8:9], off
	v_mov_b32_e32 v21, s3
	v_add_co_u32_e32 v14, vcc, s2, v14
	v_cvt_f32_f64_e32 v7, v[0:1]
	s_waitcnt vmcnt(9)
	v_mul_f32_e32 v0, v3, v27
	v_fmac_f32_e32 v0, v2, v26
	v_cvt_f64_f32_e32 v[8:9], v0
	v_mul_f32_e32 v0, v2, v27
	v_fma_f32 v0, v26, v3, -v0
	v_cvt_f64_f32_e32 v[18:19], v0
	ds_read2_b64 v[0:3], v20 offset0:136 offset1:192
	v_addc_co_u32_e32 v15, vcc, v15, v21, vcc
	global_store_dwordx2 v[14:15], v[6:7], off
	v_mul_f64 v[6:7], v[8:9], s[0:1]
	v_mul_f64 v[8:9], v[18:19], s[0:1]
	s_waitcnt vmcnt(9) lgkmcnt(0)
	v_mul_f32_e32 v18, v1, v11
	v_fmac_f32_e32 v18, v0, v10
	v_mul_f32_e32 v0, v0, v11
	v_fma_f32 v0, v10, v1, -v0
	v_cvt_f64_f32_e32 v[18:19], v18
	v_cvt_f64_f32_e32 v[0:1], v0
	v_cvt_f32_f64_e32 v6, v[6:7]
	v_cvt_f32_f64_e32 v7, v[8:9]
	v_mul_f64 v[8:9], v[18:19], s[0:1]
	v_mul_f64 v[0:1], v[0:1], s[0:1]
	v_mov_b32_e32 v11, s3
	v_add_co_u32_e32 v10, vcc, s2, v14
	v_addc_co_u32_e32 v11, vcc, v15, v11, vcc
	global_store_dwordx2 v[10:11], v[6:7], off
	v_cvt_f32_f64_e32 v6, v[8:9]
	v_cvt_f32_f64_e32 v7, v[0:1]
	v_mov_b32_e32 v0, s3
	v_add_co_u32_e32 v8, vcc, s2, v10
	v_addc_co_u32_e32 v9, vcc, v11, v0, vcc
	s_waitcnt vmcnt(6)
	v_mul_f32_e32 v0, v3, v5
	v_fmac_f32_e32 v0, v2, v4
	v_or_b32_e32 v18, 0x1c0, v52
	v_cvt_f64_f32_e32 v[0:1], v0
	v_mul_f32_e32 v2, v2, v5
	v_fma_f32 v2, v4, v3, -v2
	v_mad_u64_u32 v[4:5], s[6:7], s4, v18, 0
	v_cvt_f64_f32_e32 v[2:3], v2
	v_mul_f64 v[10:11], v[0:1], s[0:1]
	v_mov_b32_e32 v0, v5
	global_store_dwordx2 v[8:9], v[6:7], off
	v_mul_f64 v[14:15], v[2:3], s[0:1]
	v_mad_u64_u32 v[5:6], s[6:7], s5, v18, v[0:1]
	v_add_u32_e32 v0, 0xc00, v51
	ds_read2_b64 v[0:3], v0 offset0:120 offset1:176
	v_cvt_f32_f64_e32 v6, v[10:11]
	v_lshlrev_b64 v[4:5], 3, v[4:5]
	v_cvt_f32_f64_e32 v7, v[14:15]
	s_waitcnt vmcnt(6) lgkmcnt(0)
	v_mul_f32_e32 v10, v1, v17
	v_fmac_f32_e32 v10, v0, v16
	v_cvt_f64_f32_e32 v[10:11], v10
	v_mul_f32_e32 v0, v0, v17
	v_fma_f32 v0, v16, v1, -v0
	v_cvt_f64_f32_e32 v[0:1], v0
	v_mul_f64 v[10:11], v[10:11], s[0:1]
	v_add_co_u32_e32 v4, vcc, v36, v4
	s_waitcnt vmcnt(4)
	v_mul_f32_e32 v14, v3, v13
	v_fmac_f32_e32 v14, v2, v12
	v_mul_f32_e32 v2, v2, v13
	v_fma_f32 v2, v12, v3, -v2
	v_cvt_f64_f32_e32 v[14:15], v14
	v_cvt_f64_f32_e32 v[2:3], v2
	v_mul_f64 v[0:1], v[0:1], s[0:1]
	v_cvt_f32_f64_e32 v10, v[10:11]
	v_mul_f64 v[12:13], v[14:15], s[0:1]
	v_mul_f64 v[2:3], v[2:3], s[0:1]
	v_mov_b32_e32 v11, 0x380
	v_mad_u64_u32 v[8:9], s[0:1], s4, v11, v[8:9]
	v_addc_co_u32_e32 v5, vcc, v37, v5, vcc
	v_cvt_f32_f64_e32 v11, v[0:1]
	v_cvt_f32_f64_e32 v0, v[12:13]
	;; [unrolled: 1-line block ×3, first 2 shown]
	s_mul_i32 s0, s5, 0x380
	v_add_u32_e32 v9, s0, v9
	v_mov_b32_e32 v3, s3
	v_add_co_u32_e32 v2, vcc, s2, v8
	v_addc_co_u32_e32 v3, vcc, v9, v3, vcc
	global_store_dwordx2 v[4:5], v[6:7], off
	global_store_dwordx2 v[8:9], v[10:11], off
	;; [unrolled: 1-line block ×3, first 2 shown]
.LBB0_23:
	s_endpgm
	.section	.rodata,"a",@progbits
	.p2align	6, 0x0
	.amdhsa_kernel bluestein_single_fwd_len616_dim1_sp_op_CI_CI
		.amdhsa_group_segment_fixed_size 4928
		.amdhsa_private_segment_fixed_size 0
		.amdhsa_kernarg_size 104
		.amdhsa_user_sgpr_count 6
		.amdhsa_user_sgpr_private_segment_buffer 1
		.amdhsa_user_sgpr_dispatch_ptr 0
		.amdhsa_user_sgpr_queue_ptr 0
		.amdhsa_user_sgpr_kernarg_segment_ptr 1
		.amdhsa_user_sgpr_dispatch_id 0
		.amdhsa_user_sgpr_flat_scratch_init 0
		.amdhsa_user_sgpr_private_segment_size 0
		.amdhsa_uses_dynamic_stack 0
		.amdhsa_system_sgpr_private_segment_wavefront_offset 0
		.amdhsa_system_sgpr_workgroup_id_x 1
		.amdhsa_system_sgpr_workgroup_id_y 0
		.amdhsa_system_sgpr_workgroup_id_z 0
		.amdhsa_system_sgpr_workgroup_info 0
		.amdhsa_system_vgpr_workitem_id 0
		.amdhsa_next_free_vgpr 127
		.amdhsa_next_free_sgpr 19
		.amdhsa_reserve_vcc 1
		.amdhsa_reserve_flat_scratch 0
		.amdhsa_float_round_mode_32 0
		.amdhsa_float_round_mode_16_64 0
		.amdhsa_float_denorm_mode_32 3
		.amdhsa_float_denorm_mode_16_64 3
		.amdhsa_dx10_clamp 1
		.amdhsa_ieee_mode 1
		.amdhsa_fp16_overflow 0
		.amdhsa_exception_fp_ieee_invalid_op 0
		.amdhsa_exception_fp_denorm_src 0
		.amdhsa_exception_fp_ieee_div_zero 0
		.amdhsa_exception_fp_ieee_overflow 0
		.amdhsa_exception_fp_ieee_underflow 0
		.amdhsa_exception_fp_ieee_inexact 0
		.amdhsa_exception_int_div_zero 0
	.end_amdhsa_kernel
	.text
.Lfunc_end0:
	.size	bluestein_single_fwd_len616_dim1_sp_op_CI_CI, .Lfunc_end0-bluestein_single_fwd_len616_dim1_sp_op_CI_CI
                                        ; -- End function
	.section	.AMDGPU.csdata,"",@progbits
; Kernel info:
; codeLenInByte = 9888
; NumSgprs: 23
; NumVgprs: 127
; ScratchSize: 0
; MemoryBound: 0
; FloatMode: 240
; IeeeMode: 1
; LDSByteSize: 4928 bytes/workgroup (compile time only)
; SGPRBlocks: 2
; VGPRBlocks: 31
; NumSGPRsForWavesPerEU: 23
; NumVGPRsForWavesPerEU: 127
; Occupancy: 2
; WaveLimiterHint : 1
; COMPUTE_PGM_RSRC2:SCRATCH_EN: 0
; COMPUTE_PGM_RSRC2:USER_SGPR: 6
; COMPUTE_PGM_RSRC2:TRAP_HANDLER: 0
; COMPUTE_PGM_RSRC2:TGID_X_EN: 1
; COMPUTE_PGM_RSRC2:TGID_Y_EN: 0
; COMPUTE_PGM_RSRC2:TGID_Z_EN: 0
; COMPUTE_PGM_RSRC2:TIDIG_COMP_CNT: 0
	.type	__hip_cuid_e06c666c2c3e5dbc,@object ; @__hip_cuid_e06c666c2c3e5dbc
	.section	.bss,"aw",@nobits
	.globl	__hip_cuid_e06c666c2c3e5dbc
__hip_cuid_e06c666c2c3e5dbc:
	.byte	0                               ; 0x0
	.size	__hip_cuid_e06c666c2c3e5dbc, 1

	.ident	"AMD clang version 19.0.0git (https://github.com/RadeonOpenCompute/llvm-project roc-6.4.0 25133 c7fe45cf4b819c5991fe208aaa96edf142730f1d)"
	.section	".note.GNU-stack","",@progbits
	.addrsig
	.addrsig_sym __hip_cuid_e06c666c2c3e5dbc
	.amdgpu_metadata
---
amdhsa.kernels:
  - .args:
      - .actual_access:  read_only
        .address_space:  global
        .offset:         0
        .size:           8
        .value_kind:     global_buffer
      - .actual_access:  read_only
        .address_space:  global
        .offset:         8
        .size:           8
        .value_kind:     global_buffer
      - .actual_access:  read_only
        .address_space:  global
        .offset:         16
        .size:           8
        .value_kind:     global_buffer
      - .actual_access:  read_only
        .address_space:  global
        .offset:         24
        .size:           8
        .value_kind:     global_buffer
      - .actual_access:  read_only
        .address_space:  global
        .offset:         32
        .size:           8
        .value_kind:     global_buffer
      - .offset:         40
        .size:           8
        .value_kind:     by_value
      - .address_space:  global
        .offset:         48
        .size:           8
        .value_kind:     global_buffer
      - .address_space:  global
        .offset:         56
        .size:           8
        .value_kind:     global_buffer
      - .address_space:  global
        .offset:         64
        .size:           8
        .value_kind:     global_buffer
      - .address_space:  global
        .offset:         72
        .size:           8
        .value_kind:     global_buffer
      - .offset:         80
        .size:           4
        .value_kind:     by_value
      - .address_space:  global
        .offset:         88
        .size:           8
        .value_kind:     global_buffer
      - .address_space:  global
        .offset:         96
        .size:           8
        .value_kind:     global_buffer
    .group_segment_fixed_size: 4928
    .kernarg_segment_align: 8
    .kernarg_segment_size: 104
    .language:       OpenCL C
    .language_version:
      - 2
      - 0
    .max_flat_workgroup_size: 88
    .name:           bluestein_single_fwd_len616_dim1_sp_op_CI_CI
    .private_segment_fixed_size: 0
    .sgpr_count:     23
    .sgpr_spill_count: 0
    .symbol:         bluestein_single_fwd_len616_dim1_sp_op_CI_CI.kd
    .uniform_work_group_size: 1
    .uses_dynamic_stack: false
    .vgpr_count:     127
    .vgpr_spill_count: 0
    .wavefront_size: 64
amdhsa.target:   amdgcn-amd-amdhsa--gfx906
amdhsa.version:
  - 1
  - 2
...

	.end_amdgpu_metadata
